;; amdgpu-corpus repo=ROCm/aiter kind=harvested arch=n/a opt=n/a

/root/src/amdgpu-assembly/repos/ROCm__aiter/hsa/gfx942/fmha_v3_bwd/bwd_hd192_odo_bf16_group.co:	file format elf64-amdgpu

Disassembly of section .text:

0000000000002400 <_ZN5aiter29fmha_bwd_hd192_odo_bf16_groupE>:
	s_and_b32 s1, s1, 0xffff                                   // 000000002400: 8601FF01 0000FFFF
	s_load_dwordx2 s[12:13], s[0:1], 0x0                       // 000000002408: C0060300 00000000
	s_load_dwordx2 s[20:21], s[0:1], 0x10                      // 000000002410: C0060500 00000010
	s_load_dwordx2 s[16:17], s[0:1], 0x20                      // 000000002418: C0060400 00000020
	s_load_dword s6, s[0:1], 0x30                              // 000000002420: C0020180 00000030
	s_load_dword s8, s[0:1], 0x50                              // 000000002428: C0020200 00000050
	s_load_dword s50, s[0:1], 0x60                             // 000000002430: C0020C80 00000060
	s_load_dword s52, s[0:1], 0x80                             // 000000002438: C0020D00 00000080
	s_load_dword s9, s[0:1], 0x90                              // 000000002440: C0020240 00000090
	s_load_dword s11, s[0:1], 0xb0                             // 000000002448: C00202C0 000000B0
	s_load_dword s37, s[0:1], 0xd0                             // 000000002450: C0020940 000000D0
	s_load_dwordx2 s[40:41], s[0:1], 0xe0                      // 000000002458: C0060A00 000000E0
	s_load_dwordx2 s[44:45], s[0:1], 0xf0                      // 000000002460: C0060B00 000000F0
	v_lshrrev_b32_e32 v1, 10, v0                               // 000000002468: 2002008A
	v_lshrrev_b32_e32 v2, 10, v1                               // 00000000246C: 2004028A
	v_and_b32_e32 v2, 0x3ff, v2                                // 000000002470: 260404FF 000003FF
	v_and_b32_e32 v1, 0x3ff, v1                                // 000000002478: 260202FF 000003FF
	v_and_b32_e32 v0, 0x3ff, v0                                // 000000002480: 260000FF 000003FF
	v_lshrrev_b32_e32 v3, 6, v0                                // 000000002488: 20060086
	v_and_b32_e32 v0, 63, v0                                   // 00000000248C: 260000BF
	s_mov_b32 s2, s2                                           // 000000002490: BE820002
	s_mov_b32 s3, s3                                           // 000000002494: BE830003
	s_mov_b32 s4, s4                                           // 000000002498: BE840004
	v_readfirstlane_b32 s30, v3                                // 00000000249C: 7E3C0503
	s_waitcnt lgkmcnt(0)                                       // 0000000024A0: BF8CC07F
	s_mul_i32 s31, s4, 4                                       // 0000000024A4: 921F8404
	s_add_u32 s40, s31, s40                                    // 0000000024A8: 8028281F
	s_addc_u32 s41, 0, s41                                     // 0000000024AC: 82292980
	s_load_dwordx2 s[42:43], s[40:41], 0x0                     // 0000000024B0: C0060A94 00000000
	s_add_u32 s44, s31, s44                                    // 0000000024B8: 802C2C1F
	s_addc_u32 s45, 0, s45                                     // 0000000024BC: 822D2D80
	s_load_dword s46, s[44:45], 0x0                            // 0000000024C0: C0020B96 00000000
	s_mov_b32 s15, 0x20000                                     // 0000000024C8: BE8F00FF 00020000
	s_mov_b32 s19, 0x20000                                     // 0000000024D0: BE9300FF 00020000
	s_mov_b32 s23, 0x20000                                     // 0000000024D8: BE9700FF 00020000
	s_and_b32 s13, s13, 0xffff                                 // 0000000024E0: 860DFF0D 0000FFFF
	s_and_b32 s17, s17, 0xffff                                 // 0000000024E8: 8611FF11 0000FFFF
	s_and_b32 s21, s21, 0xffff                                 // 0000000024F0: 8615FF15 0000FFFF
	s_or_b32 s13, s13, 0x40000                                 // 0000000024F8: 870DFF0D 00040000
	s_or_b32 s17, s17, 0x40000                                 // 000000002500: 8711FF11 00040000
	s_or_b32 s21, s21, 0x40000                                 // 000000002508: 8715FF15 00040000
	v_mov_b32_e32 v47, 0                                       // 000000002510: 7E5E0280
	s_mov_b32 s24, s12                                         // 000000002514: BE98000C
	s_mov_b32 s25, s13                                         // 000000002518: BE99000D
	s_mov_b32 s26, s16                                         // 00000000251C: BE9A0010
	s_mov_b32 s27, s17                                         // 000000002520: BE9B0011
	s_mov_b32 s28, s20                                         // 000000002524: BE9C0014
	s_mov_b32 s29, s21                                         // 000000002528: BE9D0015
	s_waitcnt lgkmcnt(0)                                       // 00000000252C: BF8CC07F
	s_mul_i32 s31, s2, 0x80                                    // 000000002530: 921FFF02 00000080
	s_sub_i32 s39, s43, s42                                    // 000000002538: 81A72A2B
	s_mov_b32 s42, s46                                         // 00000000253C: BEAA002E
	s_cmp_ge_i32 s31, s39                                      // 000000002540: BF03271F
	s_cbranch_scc1 label_04FA                                  // 000000002544: BF8504A8
	s_mul_i32 s31, s8, 0x80                                    // 000000002548: 921FFF08 00000080
	s_mul_i32 s31, s2, s31                                     // 000000002550: 921F1F02
	s_mul_i32 s32, s3, s6                                      // 000000002554: 92200603
	s_mul_i32 s33, s42, s8                                     // 000000002558: 9221082A
	s_add_u32 s34, s31, s32                                    // 00000000255C: 8022201F
	s_add_u32 s34, s34, s33                                    // 000000002560: 80222122
	s_mul_i32 s32, s39, s8                                     // 000000002564: 92200827
	s_sub_i32 s32, s32, s31                                    // 000000002568: 81A01F20
	s_mov_b32 s14, s32                                         // 00000000256C: BE8E0020
	s_add_u32 s12, s34, s24                                    // 000000002570: 800C1822
	s_addc_u32 s13, 0, s25                                     // 000000002574: 820D1980
	s_mul_i32 s31, s52, 0x80                                   // 000000002578: 921FFF34 00000080
	s_mul_i32 s31, s2, s31                                     // 000000002580: 921F1F02
	s_mul_i32 s32, s3, s50                                     // 000000002584: 92203203
	s_mul_i32 s33, s42, s52                                    // 000000002588: 9221342A
	s_add_u32 s53, s31, s32                                    // 00000000258C: 8035201F
	s_add_u32 s53, s53, s33                                    // 000000002590: 80352135
	s_mul_i32 s32, s39, s52                                    // 000000002594: 92203427
	s_sub_i32 s32, s32, s31                                    // 000000002598: 81A01F20
	s_mov_b32 s22, s32                                         // 00000000259C: BE960020
	s_add_u32 s20, s53, s28                                    // 0000000025A0: 80141C35
	s_addc_u32 s21, 0, s29                                     // 0000000025A4: 82151D80
	s_mul_i32 s31, s11, 0x80                                   // 0000000025A8: 921FFF0B 00000080
	s_mul_i32 s31, s2, s31                                     // 0000000025B0: 921F1F02
	s_mul_i32 s32, s3, s9                                      // 0000000025B4: 92200903
	s_mul_i32 s33, s42, s11                                    // 0000000025B8: 92210B2A
	s_add_u32 s35, s31, s32                                    // 0000000025BC: 8023201F
	s_add_u32 s35, s35, s33                                    // 0000000025C0: 80232123
	s_mul_i32 s32, s39, s11                                    // 0000000025C4: 92200B27
	s_sub_i32 s32, s32, s31                                    // 0000000025C8: 81A01F20
	s_mov_b32 s18, s32                                         // 0000000025CC: BE920020
	s_add_u32 s16, s35, s26                                    // 0000000025D0: 80101A23
	s_addc_u32 s17, 0, s27                                     // 0000000025D4: 82111B80
	v_readfirstlane_b32 s30, v3                                // 0000000025D8: 7E3C0503
	v_lshrrev_b32_e32 v36, 3, v0                               // 0000000025DC: 20480083
	v_mul_i32_i24_e32 v36, s8, v36                             // 0000000025E0: 0C484808
	v_and_b32_e32 v37, 7, v0                                   // 0000000025E4: 264A0087
	v_mul_i32_i24_e32 v37, 16, v37                             // 0000000025E8: 0C4A4A90
	v_add_u32_e32 v37, v36, v37                                // 0000000025EC: 684A4B24
	v_mov_b32_e32 v4, v37                                      // 0000000025F0: 7E080325
	s_mul_i32 s31, 32, s8                                      // 0000000025F4: 921F08A0
	s_mul_i32 s31, s30, s31                                    // 0000000025F8: 921F1F1E
	v_add_u32_e32 v4, s31, v4                                  // 0000000025FC: 6808081F
	v_lshrrev_b32_e32 v36, 3, v0                               // 000000002600: 20480083
	v_mul_i32_i24_e32 v36, s52, v36                            // 000000002604: 0C484834
	v_and_b32_e32 v37, 7, v0                                   // 000000002608: 264A0087
	v_mul_i32_i24_e32 v37, 16, v37                             // 00000000260C: 0C4A4A90
	v_add_u32_e32 v37, v36, v37                                // 000000002610: 684A4B24
	v_mov_b32_e32 v45, v37                                     // 000000002614: 7E5A0325
	s_mul_i32 s31, 32, s52                                     // 000000002618: 921F34A0
	s_mul_i32 s31, s30, s31                                    // 00000000261C: 921F1F1E
	v_add_u32_e32 v45, s31, v45                                // 000000002620: 685A5A1F
	v_lshrrev_b32_e32 v5, 3, v0                                // 000000002624: 200A0083
	v_mul_i32_i24_e32 v5, s11, v5                              // 000000002628: 0C0A0A0B
	v_and_b32_e32 v36, 7, v0                                   // 00000000262C: 26480087
	v_lshrrev_b32_e32 v36, 1, v36                              // 000000002630: 20484881
	v_lshlrev_b32_e32 v36, 5, v36                              // 000000002634: 24484885
	v_add_u32_e32 v5, v5, v36                                  // 000000002638: 680A4905
	s_mul_i32 s31, 32, s11                                     // 00000000263C: 921F0BA0
	s_mul_i32 s31, s30, s31                                    // 000000002640: 921F1F1E
	v_add_u32_e32 v5, s31, v5                                  // 000000002644: 680A0A1F
	v_and_b32_e32 v36, 7, v0                                   // 000000002648: 26480087
	v_lshlrev_b32_e32 v36, 3, v36                              // 00000000264C: 24484883
	s_sub_i32 s31, s37, 0x80                                   // 000000002650: 819FFF25 00000080
	v_cmp_lt_u32_e64 s[36:37], v36, s31                        // 000000002658: D0C90024 00003F24
	v_and_b32_e32 v36, 1, v0                                   // 000000002660: 26480081
	v_cmp_eq_u32_e64 s[38:39], v36, 0                          // 000000002664: D0CA0026 00010124
	v_lshlrev_b32_e32 v32, 2, v0                               // 00000000266C: 24400082
	s_lshl_b32 s31, s30, 8                                     // 000000002670: 8E1F881E
	v_add_u32_e32 v32, s31, v32                                // 000000002674: 6840401F
	v_lshrrev_b32_e32 v34, 3, v0                               // 000000002678: 20440083
	v_mul_i32_i24_e32 v34, 32, v34                             // 00000000267C: 0C4444A0
	v_add_u32_e32 v34, s31, v34                                // 000000002680: 6844441F
	v_add_u32_e32 v35, 16, v34                                 // 000000002684: 68464490
	v_mov_b32_e32 v30, 0                                       // 000000002688: 7E3C0280
	s_mul_i32 s31, s8, 0                                       // 00000000268C: 921F8008
	s_lshl_b32 s31, s31, 3                                     // 000000002690: 8E1F831F
	v_add_u32_e32 v31, s31, v4                                 // 000000002694: 683E081F
	s_mul_i32 s31, s52, 0                                      // 000000002698: 921F8034
	s_lshl_b32 s31, s31, 3                                     // 00000000269C: 8E1F831F
	v_add_u32_e32 v46, s31, v45                                // 0000000026A0: 685C5A1F
	v_and_b32_e32 v44, 7, v0                                   // 0000000026A4: 26580087
	v_cmp_eq_u32_e64 s[48:49], v44, 0                          // 0000000026A8: D0CA0030 0001012C
	buffer_load_dwordx4 v[18:21], v46, s[20:23], 0 offen       // 0000000026B0: E05C1000 8005122E
	buffer_load_dwordx4 v[6:9], v31, s[12:15], 0 offen         // 0000000026B8: E05C1000 8003061F
	v_add_u32_e32 v31, 0x80, v31                               // 0000000026C0: 683E3EFF 00000080
	v_add_u32_e32 v46, 0x80, v46                               // 0000000026C8: 685C5CFF 00000080
	s_waitcnt vmcnt(0) expcnt(0) lgkmcnt(0)                    // 0000000026D0: BF8C0000
	s_barrier                                                  // 0000000026D4: BF8A0000
	buffer_load_dwordx4 v[22:25], v46, s[20:23], 0 offen       // 0000000026D8: E05C1000 8005162E
	buffer_load_dwordx4 v[10:13], v31, s[12:15], 0 offen       // 0000000026E0: E05C1000 80030A1F
	v_add_u32_e32 v31, 0x80, v31                               // 0000000026E8: 683E3EFF 00000080
	v_add_u32_e32 v46, 0x80, v46                               // 0000000026F0: 685C5CFF 00000080
	v_mov_b32_e32 v40, 0                                       // 0000000026F8: 7E500280
	v_and_b32_e32 v36, 0xffff, v6                              // 0000000026FC: 26480CFF 0000FFFF
	v_lshrrev_b32_e32 v37, 16, v6                              // 000000002704: 204A0C90
	v_and_b32_e32 v38, 0xffff, v18                             // 000000002708: 264C24FF 0000FFFF
	v_lshrrev_b32_e32 v39, 16, v18                             // 000000002710: 204E2490
	v_lshlrev_b32_e32 v36, 16, v36                             // 000000002714: 24484890
	v_lshlrev_b32_e32 v38, 16, v38                             // 000000002718: 244C4C90
	v_lshlrev_b32_e32 v37, 16, v37                             // 00000000271C: 244A4A90
	v_lshlrev_b32_e32 v39, 16, v39                             // 000000002720: 244E4E90
	v_fma_f32 v40, v36, v38, v40                               // 000000002724: D1CB0028 04A24D24
	v_fma_f32 v40, v37, v39, v40                               // 00000000272C: D1CB0028 04A24F25
	v_and_b32_e32 v36, 0xffff, v7                              // 000000002734: 26480EFF 0000FFFF
	v_lshrrev_b32_e32 v37, 16, v7                              // 00000000273C: 204A0E90
	v_and_b32_e32 v38, 0xffff, v19                             // 000000002740: 264C26FF 0000FFFF
	v_lshrrev_b32_e32 v39, 16, v19                             // 000000002748: 204E2690
	v_lshlrev_b32_e32 v36, 16, v36                             // 00000000274C: 24484890
	v_lshlrev_b32_e32 v38, 16, v38                             // 000000002750: 244C4C90
	v_lshlrev_b32_e32 v37, 16, v37                             // 000000002754: 244A4A90
	v_lshlrev_b32_e32 v39, 16, v39                             // 000000002758: 244E4E90
	v_fma_f32 v40, v36, v38, v40                               // 00000000275C: D1CB0028 04A24D24
	v_fma_f32 v40, v37, v39, v40                               // 000000002764: D1CB0028 04A24F25
	v_and_b32_e32 v36, 0xffff, v8                              // 00000000276C: 264810FF 0000FFFF
	v_lshrrev_b32_e32 v37, 16, v8                              // 000000002774: 204A1090
	v_and_b32_e32 v38, 0xffff, v20                             // 000000002778: 264C28FF 0000FFFF
	v_lshrrev_b32_e32 v39, 16, v20                             // 000000002780: 204E2890
	v_lshlrev_b32_e32 v36, 16, v36                             // 000000002784: 24484890
	v_lshlrev_b32_e32 v38, 16, v38                             // 000000002788: 244C4C90
	v_lshlrev_b32_e32 v37, 16, v37                             // 00000000278C: 244A4A90
	v_lshlrev_b32_e32 v39, 16, v39                             // 000000002790: 244E4E90
	v_fma_f32 v40, v36, v38, v40                               // 000000002794: D1CB0028 04A24D24
	v_fma_f32 v40, v37, v39, v40                               // 00000000279C: D1CB0028 04A24F25
	v_and_b32_e32 v36, 0xffff, v9                              // 0000000027A4: 264812FF 0000FFFF
	v_lshrrev_b32_e32 v37, 16, v9                              // 0000000027AC: 204A1290
	v_and_b32_e32 v38, 0xffff, v21                             // 0000000027B0: 264C2AFF 0000FFFF
	v_lshrrev_b32_e32 v39, 16, v21                             // 0000000027B8: 204E2A90
	v_lshlrev_b32_e32 v36, 16, v36                             // 0000000027BC: 24484890
	v_lshlrev_b32_e32 v38, 16, v38                             // 0000000027C0: 244C4C90
	v_lshlrev_b32_e32 v37, 16, v37                             // 0000000027C4: 244A4A90
	v_lshlrev_b32_e32 v39, 16, v39                             // 0000000027C8: 244E4E90
	v_fma_f32 v40, v36, v38, v40                               // 0000000027CC: D1CB0028 04A24D24
	v_fma_f32 v40, v37, v39, v40                               // 0000000027D4: D1CB0028 04A24F25
	ds_write_b32 v32, v40                                      // 0000000027DC: D81A0000 00002820
	s_waitcnt lgkmcnt(0)                                       // 0000000027E4: BF8CC07F
	s_mov_b64 exec, s[48:49]                                   // 0000000027E8: BEFE0130
	ds_read_b128 v[36:39], v34                                 // 0000000027EC: D9FE0000 24000022
	s_waitcnt lgkmcnt(0)                                       // 0000000027F4: BF8CC07F
	ds_read_b128 v[40:43], v35                                 // 0000000027F8: D9FE0000 28000023
	s_waitcnt lgkmcnt(0)                                       // 000000002800: BF8CC07F
	v_add_f32_e32 v30, v36, v30                                // 000000002804: 023C3D24
	v_add_f32_e32 v30, v37, v30                                // 000000002808: 023C3D25
	v_add_f32_e32 v30, v38, v30                                // 00000000280C: 023C3D26
	v_add_f32_e32 v30, v39, v30                                // 000000002810: 023C3D27
	v_add_f32_e32 v30, v40, v30                                // 000000002814: 023C3D28
	v_add_f32_e32 v30, v41, v30                                // 000000002818: 023C3D29
	v_add_f32_e32 v30, v42, v30                                // 00000000281C: 023C3D2A
	v_add_f32_e32 v30, v43, v30                                // 000000002820: 023C3D2B
	s_mov_b64 exec, -1                                         // 000000002824: BEFE01C1
	s_waitcnt vmcnt(0) expcnt(0) lgkmcnt(0)                    // 000000002828: BF8C0000
	s_barrier                                                  // 00000000282C: BF8A0000
	v_mov_b32_e32 v26, 0                                       // 000000002830: 7E340280
	v_mov_b32_e32 v14, 0                                       // 000000002834: 7E1C0280
	v_mov_b32_e32 v27, 0                                       // 000000002838: 7E360280
	v_mov_b32_e32 v15, 0                                       // 00000000283C: 7E1E0280
	v_mov_b32_e32 v28, 0                                       // 000000002840: 7E380280
	v_mov_b32_e32 v16, 0                                       // 000000002844: 7E200280
	v_mov_b32_e32 v29, 0                                       // 000000002848: 7E3A0280
	v_mov_b32_e32 v17, 0                                       // 00000000284C: 7E220280
	s_mov_b64 exec, s[36:37]                                   // 000000002850: BEFE0124
	buffer_load_dwordx4 v[26:29], v46, s[20:23], 0 offen       // 000000002854: E05C1000 80051A2E
	buffer_load_dwordx4 v[14:17], v31, s[12:15], 0 offen       // 00000000285C: E05C1000 80030E1F
	s_mov_b64 exec, -1                                         // 000000002864: BEFE01C1
	v_add_u32_e32 v31, 0x80, v31                               // 000000002868: 683E3EFF 00000080
	v_add_u32_e32 v46, 0x80, v46                               // 000000002870: 685C5CFF 00000080
	v_mov_b32_e32 v40, 0                                       // 000000002878: 7E500280
	v_and_b32_e32 v36, 0xffff, v10                             // 00000000287C: 264814FF 0000FFFF
	v_lshrrev_b32_e32 v37, 16, v10                             // 000000002884: 204A1490
	v_and_b32_e32 v38, 0xffff, v22                             // 000000002888: 264C2CFF 0000FFFF
	v_lshrrev_b32_e32 v39, 16, v22                             // 000000002890: 204E2C90
	v_lshlrev_b32_e32 v36, 16, v36                             // 000000002894: 24484890
	v_lshlrev_b32_e32 v38, 16, v38                             // 000000002898: 244C4C90
	v_lshlrev_b32_e32 v37, 16, v37                             // 00000000289C: 244A4A90
	v_lshlrev_b32_e32 v39, 16, v39                             // 0000000028A0: 244E4E90
	v_fma_f32 v40, v36, v38, v40                               // 0000000028A4: D1CB0028 04A24D24
	v_fma_f32 v40, v37, v39, v40                               // 0000000028AC: D1CB0028 04A24F25
	v_and_b32_e32 v36, 0xffff, v11                             // 0000000028B4: 264816FF 0000FFFF
	v_lshrrev_b32_e32 v37, 16, v11                             // 0000000028BC: 204A1690
	v_and_b32_e32 v38, 0xffff, v23                             // 0000000028C0: 264C2EFF 0000FFFF
	v_lshrrev_b32_e32 v39, 16, v23                             // 0000000028C8: 204E2E90
	v_lshlrev_b32_e32 v36, 16, v36                             // 0000000028CC: 24484890
	v_lshlrev_b32_e32 v38, 16, v38                             // 0000000028D0: 244C4C90
	v_lshlrev_b32_e32 v37, 16, v37                             // 0000000028D4: 244A4A90
	v_lshlrev_b32_e32 v39, 16, v39                             // 0000000028D8: 244E4E90
	v_fma_f32 v40, v36, v38, v40                               // 0000000028DC: D1CB0028 04A24D24
	v_fma_f32 v40, v37, v39, v40                               // 0000000028E4: D1CB0028 04A24F25
	v_and_b32_e32 v36, 0xffff, v12                             // 0000000028EC: 264818FF 0000FFFF
	v_lshrrev_b32_e32 v37, 16, v12                             // 0000000028F4: 204A1890
	v_and_b32_e32 v38, 0xffff, v24                             // 0000000028F8: 264C30FF 0000FFFF
	v_lshrrev_b32_e32 v39, 16, v24                             // 000000002900: 204E3090
	v_lshlrev_b32_e32 v36, 16, v36                             // 000000002904: 24484890
	v_lshlrev_b32_e32 v38, 16, v38                             // 000000002908: 244C4C90
	v_lshlrev_b32_e32 v37, 16, v37                             // 00000000290C: 244A4A90
	v_lshlrev_b32_e32 v39, 16, v39                             // 000000002910: 244E4E90
	v_fma_f32 v40, v36, v38, v40                               // 000000002914: D1CB0028 04A24D24
	v_fma_f32 v40, v37, v39, v40                               // 00000000291C: D1CB0028 04A24F25
	v_and_b32_e32 v36, 0xffff, v13                             // 000000002924: 26481AFF 0000FFFF
	v_lshrrev_b32_e32 v37, 16, v13                             // 00000000292C: 204A1A90
	v_and_b32_e32 v38, 0xffff, v25                             // 000000002930: 264C32FF 0000FFFF
	v_lshrrev_b32_e32 v39, 16, v25                             // 000000002938: 204E3290
	v_lshlrev_b32_e32 v36, 16, v36                             // 00000000293C: 24484890
	v_lshlrev_b32_e32 v38, 16, v38                             // 000000002940: 244C4C90
	v_lshlrev_b32_e32 v37, 16, v37                             // 000000002944: 244A4A90
	v_lshlrev_b32_e32 v39, 16, v39                             // 000000002948: 244E4E90
	v_fma_f32 v40, v36, v38, v40                               // 00000000294C: D1CB0028 04A24D24
	v_fma_f32 v40, v37, v39, v40                               // 000000002954: D1CB0028 04A24F25
	ds_write_b32 v32, v40                                      // 00000000295C: D81A0000 00002820
	s_waitcnt lgkmcnt(0)                                       // 000000002964: BF8CC07F
	s_mov_b64 exec, s[48:49]                                   // 000000002968: BEFE0130
	ds_read_b128 v[36:39], v34                                 // 00000000296C: D9FE0000 24000022
	s_waitcnt lgkmcnt(0)                                       // 000000002974: BF8CC07F
	ds_read_b128 v[40:43], v35                                 // 000000002978: D9FE0000 28000023
	s_waitcnt lgkmcnt(0)                                       // 000000002980: BF8CC07F
	v_add_f32_e32 v30, v36, v30                                // 000000002984: 023C3D24
	v_add_f32_e32 v30, v37, v30                                // 000000002988: 023C3D25
	v_add_f32_e32 v30, v38, v30                                // 00000000298C: 023C3D26
	v_add_f32_e32 v30, v39, v30                                // 000000002990: 023C3D27
	v_add_f32_e32 v30, v40, v30                                // 000000002994: 023C3D28
	v_add_f32_e32 v30, v41, v30                                // 000000002998: 023C3D29
	v_add_f32_e32 v30, v42, v30                                // 00000000299C: 023C3D2A
	v_add_f32_e32 v30, v43, v30                                // 0000000029A0: 023C3D2B
	s_mov_b64 exec, -1                                         // 0000000029A4: BEFE01C1
	s_waitcnt vmcnt(0) expcnt(0) lgkmcnt(0)                    // 0000000029A8: BF8C0000
	s_barrier                                                  // 0000000029AC: BF8A0000
	v_mov_b32_e32 v40, 0                                       // 0000000029B0: 7E500280
	v_and_b32_e32 v36, 0xffff, v14                             // 0000000029B4: 26481CFF 0000FFFF
	v_lshrrev_b32_e32 v37, 16, v14                             // 0000000029BC: 204A1C90
	v_and_b32_e32 v38, 0xffff, v26                             // 0000000029C0: 264C34FF 0000FFFF
	v_lshrrev_b32_e32 v39, 16, v26                             // 0000000029C8: 204E3490
	v_lshlrev_b32_e32 v36, 16, v36                             // 0000000029CC: 24484890
	v_lshlrev_b32_e32 v38, 16, v38                             // 0000000029D0: 244C4C90
	v_lshlrev_b32_e32 v37, 16, v37                             // 0000000029D4: 244A4A90
	v_lshlrev_b32_e32 v39, 16, v39                             // 0000000029D8: 244E4E90
	v_fma_f32 v40, v36, v38, v40                               // 0000000029DC: D1CB0028 04A24D24
	v_fma_f32 v40, v37, v39, v40                               // 0000000029E4: D1CB0028 04A24F25
	v_and_b32_e32 v36, 0xffff, v15                             // 0000000029EC: 26481EFF 0000FFFF
	v_lshrrev_b32_e32 v37, 16, v15                             // 0000000029F4: 204A1E90
	v_and_b32_e32 v38, 0xffff, v27                             // 0000000029F8: 264C36FF 0000FFFF
	v_lshrrev_b32_e32 v39, 16, v27                             // 000000002A00: 204E3690
	v_lshlrev_b32_e32 v36, 16, v36                             // 000000002A04: 24484890
	v_lshlrev_b32_e32 v38, 16, v38                             // 000000002A08: 244C4C90
	v_lshlrev_b32_e32 v37, 16, v37                             // 000000002A0C: 244A4A90
	v_lshlrev_b32_e32 v39, 16, v39                             // 000000002A10: 244E4E90
	v_fma_f32 v40, v36, v38, v40                               // 000000002A14: D1CB0028 04A24D24
	v_fma_f32 v40, v37, v39, v40                               // 000000002A1C: D1CB0028 04A24F25
	v_and_b32_e32 v36, 0xffff, v16                             // 000000002A24: 264820FF 0000FFFF
	v_lshrrev_b32_e32 v37, 16, v16                             // 000000002A2C: 204A2090
	v_and_b32_e32 v38, 0xffff, v28                             // 000000002A30: 264C38FF 0000FFFF
	v_lshrrev_b32_e32 v39, 16, v28                             // 000000002A38: 204E3890
	v_lshlrev_b32_e32 v36, 16, v36                             // 000000002A3C: 24484890
	v_lshlrev_b32_e32 v38, 16, v38                             // 000000002A40: 244C4C90
	v_lshlrev_b32_e32 v37, 16, v37                             // 000000002A44: 244A4A90
	v_lshlrev_b32_e32 v39, 16, v39                             // 000000002A48: 244E4E90
	v_fma_f32 v40, v36, v38, v40                               // 000000002A4C: D1CB0028 04A24D24
	v_fma_f32 v40, v37, v39, v40                               // 000000002A54: D1CB0028 04A24F25
	v_and_b32_e32 v36, 0xffff, v17                             // 000000002A5C: 264822FF 0000FFFF
	v_lshrrev_b32_e32 v37, 16, v17                             // 000000002A64: 204A2290
	v_and_b32_e32 v38, 0xffff, v29                             // 000000002A68: 264C3AFF 0000FFFF
	v_lshrrev_b32_e32 v39, 16, v29                             // 000000002A70: 204E3A90
	v_lshlrev_b32_e32 v36, 16, v36                             // 000000002A74: 24484890
	v_lshlrev_b32_e32 v38, 16, v38                             // 000000002A78: 244C4C90
	v_lshlrev_b32_e32 v37, 16, v37                             // 000000002A7C: 244A4A90
	v_lshlrev_b32_e32 v39, 16, v39                             // 000000002A80: 244E4E90
	v_fma_f32 v40, v36, v38, v40                               // 000000002A84: D1CB0028 04A24D24
	v_fma_f32 v40, v37, v39, v40                               // 000000002A8C: D1CB0028 04A24F25
	ds_write_b32 v32, v40                                      // 000000002A94: D81A0000 00002820
	s_waitcnt lgkmcnt(0)                                       // 000000002A9C: BF8CC07F
	s_mov_b64 exec, s[48:49]                                   // 000000002AA0: BEFE0130
	ds_read_b128 v[36:39], v34                                 // 000000002AA4: D9FE0000 24000022
	s_waitcnt lgkmcnt(0)                                       // 000000002AAC: BF8CC07F
	ds_read_b128 v[40:43], v35                                 // 000000002AB0: D9FE0000 28000023
	s_waitcnt lgkmcnt(0)                                       // 000000002AB8: BF8CC07F
	v_add_f32_e32 v30, v36, v30                                // 000000002ABC: 023C3D24
	v_add_f32_e32 v30, v37, v30                                // 000000002AC0: 023C3D25
	v_add_f32_e32 v30, v38, v30                                // 000000002AC4: 023C3D26
	v_add_f32_e32 v30, v39, v30                                // 000000002AC8: 023C3D27
	v_add_f32_e32 v30, v40, v30                                // 000000002ACC: 023C3D28
	v_add_f32_e32 v30, v41, v30                                // 000000002AD0: 023C3D29
	v_add_f32_e32 v30, v42, v30                                // 000000002AD4: 023C3D2A
	v_add_f32_e32 v30, v43, v30                                // 000000002AD8: 023C3D2B
	s_mov_b64 exec, -1                                         // 000000002ADC: BEFE01C1
	s_mul_i32 s31, s8, 1                                       // 000000002AE0: 921F8108
	s_lshl_b32 s31, s31, 3                                     // 000000002AE4: 8E1F831F
	v_add_u32_e32 v31, s31, v4                                 // 000000002AE8: 683E081F
	s_mul_i32 s31, s52, 1                                      // 000000002AEC: 921F8134
	s_lshl_b32 s31, s31, 3                                     // 000000002AF0: 8E1F831F
	v_add_u32_e32 v46, s31, v45                                // 000000002AF4: 685C5A1F
	v_and_b32_e32 v44, 7, v0                                   // 000000002AF8: 26580087
	v_cmp_eq_u32_e64 s[48:49], v44, 2                          // 000000002AFC: D0CA0030 0001052C
	buffer_load_dwordx4 v[18:21], v46, s[20:23], 0 offen       // 000000002B04: E05C1000 8005122E
	buffer_load_dwordx4 v[6:9], v31, s[12:15], 0 offen         // 000000002B0C: E05C1000 8003061F
	v_add_u32_e32 v31, 0x80, v31                               // 000000002B14: 683E3EFF 00000080
	v_add_u32_e32 v46, 0x80, v46                               // 000000002B1C: 685C5CFF 00000080
	s_waitcnt vmcnt(0) expcnt(0) lgkmcnt(0)                    // 000000002B24: BF8C0000
	s_barrier                                                  // 000000002B28: BF8A0000
	buffer_load_dwordx4 v[22:25], v46, s[20:23], 0 offen       // 000000002B2C: E05C1000 8005162E
	buffer_load_dwordx4 v[10:13], v31, s[12:15], 0 offen       // 000000002B34: E05C1000 80030A1F
	v_add_u32_e32 v31, 0x80, v31                               // 000000002B3C: 683E3EFF 00000080
	v_add_u32_e32 v46, 0x80, v46                               // 000000002B44: 685C5CFF 00000080
	v_mov_b32_e32 v40, 0                                       // 000000002B4C: 7E500280
	v_and_b32_e32 v36, 0xffff, v6                              // 000000002B50: 26480CFF 0000FFFF
	v_lshrrev_b32_e32 v37, 16, v6                              // 000000002B58: 204A0C90
	v_and_b32_e32 v38, 0xffff, v18                             // 000000002B5C: 264C24FF 0000FFFF
	v_lshrrev_b32_e32 v39, 16, v18                             // 000000002B64: 204E2490
	v_lshlrev_b32_e32 v36, 16, v36                             // 000000002B68: 24484890
	v_lshlrev_b32_e32 v38, 16, v38                             // 000000002B6C: 244C4C90
	v_lshlrev_b32_e32 v37, 16, v37                             // 000000002B70: 244A4A90
	v_lshlrev_b32_e32 v39, 16, v39                             // 000000002B74: 244E4E90
	v_fma_f32 v40, v36, v38, v40                               // 000000002B78: D1CB0028 04A24D24
	v_fma_f32 v40, v37, v39, v40                               // 000000002B80: D1CB0028 04A24F25
	v_and_b32_e32 v36, 0xffff, v7                              // 000000002B88: 26480EFF 0000FFFF
	v_lshrrev_b32_e32 v37, 16, v7                              // 000000002B90: 204A0E90
	v_and_b32_e32 v38, 0xffff, v19                             // 000000002B94: 264C26FF 0000FFFF
	v_lshrrev_b32_e32 v39, 16, v19                             // 000000002B9C: 204E2690
	v_lshlrev_b32_e32 v36, 16, v36                             // 000000002BA0: 24484890
	v_lshlrev_b32_e32 v38, 16, v38                             // 000000002BA4: 244C4C90
	v_lshlrev_b32_e32 v37, 16, v37                             // 000000002BA8: 244A4A90
	v_lshlrev_b32_e32 v39, 16, v39                             // 000000002BAC: 244E4E90
	v_fma_f32 v40, v36, v38, v40                               // 000000002BB0: D1CB0028 04A24D24
	v_fma_f32 v40, v37, v39, v40                               // 000000002BB8: D1CB0028 04A24F25
	v_and_b32_e32 v36, 0xffff, v8                              // 000000002BC0: 264810FF 0000FFFF
	v_lshrrev_b32_e32 v37, 16, v8                              // 000000002BC8: 204A1090
	v_and_b32_e32 v38, 0xffff, v20                             // 000000002BCC: 264C28FF 0000FFFF
	v_lshrrev_b32_e32 v39, 16, v20                             // 000000002BD4: 204E2890
	v_lshlrev_b32_e32 v36, 16, v36                             // 000000002BD8: 24484890
	v_lshlrev_b32_e32 v38, 16, v38                             // 000000002BDC: 244C4C90
	v_lshlrev_b32_e32 v37, 16, v37                             // 000000002BE0: 244A4A90
	v_lshlrev_b32_e32 v39, 16, v39                             // 000000002BE4: 244E4E90
	v_fma_f32 v40, v36, v38, v40                               // 000000002BE8: D1CB0028 04A24D24
	v_fma_f32 v40, v37, v39, v40                               // 000000002BF0: D1CB0028 04A24F25
	v_and_b32_e32 v36, 0xffff, v9                              // 000000002BF8: 264812FF 0000FFFF
	v_lshrrev_b32_e32 v37, 16, v9                              // 000000002C00: 204A1290
	v_and_b32_e32 v38, 0xffff, v21                             // 000000002C04: 264C2AFF 0000FFFF
	v_lshrrev_b32_e32 v39, 16, v21                             // 000000002C0C: 204E2A90
	v_lshlrev_b32_e32 v36, 16, v36                             // 000000002C10: 24484890
	v_lshlrev_b32_e32 v38, 16, v38                             // 000000002C14: 244C4C90
	v_lshlrev_b32_e32 v37, 16, v37                             // 000000002C18: 244A4A90
	v_lshlrev_b32_e32 v39, 16, v39                             // 000000002C1C: 244E4E90
	v_fma_f32 v40, v36, v38, v40                               // 000000002C20: D1CB0028 04A24D24
	v_fma_f32 v40, v37, v39, v40                               // 000000002C28: D1CB0028 04A24F25
	ds_write_b32 v32, v40                                      // 000000002C30: D81A0000 00002820
	s_waitcnt lgkmcnt(0)                                       // 000000002C38: BF8CC07F
	s_mov_b64 exec, s[48:49]                                   // 000000002C3C: BEFE0130
	ds_read_b128 v[36:39], v34                                 // 000000002C40: D9FE0000 24000022
	s_waitcnt lgkmcnt(0)                                       // 000000002C48: BF8CC07F
	ds_read_b128 v[40:43], v35                                 // 000000002C4C: D9FE0000 28000023
	s_waitcnt lgkmcnt(0)                                       // 000000002C54: BF8CC07F
	v_add_f32_e32 v30, v36, v30                                // 000000002C58: 023C3D24
	v_add_f32_e32 v30, v37, v30                                // 000000002C5C: 023C3D25
	v_add_f32_e32 v30, v38, v30                                // 000000002C60: 023C3D26
	v_add_f32_e32 v30, v39, v30                                // 000000002C64: 023C3D27
	v_add_f32_e32 v30, v40, v30                                // 000000002C68: 023C3D28
	v_add_f32_e32 v30, v41, v30                                // 000000002C6C: 023C3D29
	v_add_f32_e32 v30, v42, v30                                // 000000002C70: 023C3D2A
	v_add_f32_e32 v30, v43, v30                                // 000000002C74: 023C3D2B
	s_mov_b64 exec, -1                                         // 000000002C78: BEFE01C1
	s_waitcnt vmcnt(0) expcnt(0) lgkmcnt(0)                    // 000000002C7C: BF8C0000
	s_barrier                                                  // 000000002C80: BF8A0000
	v_mov_b32_e32 v26, 0                                       // 000000002C84: 7E340280
	v_mov_b32_e32 v14, 0                                       // 000000002C88: 7E1C0280
	v_mov_b32_e32 v27, 0                                       // 000000002C8C: 7E360280
	v_mov_b32_e32 v15, 0                                       // 000000002C90: 7E1E0280
	v_mov_b32_e32 v28, 0                                       // 000000002C94: 7E380280
	v_mov_b32_e32 v16, 0                                       // 000000002C98: 7E200280
	v_mov_b32_e32 v29, 0                                       // 000000002C9C: 7E3A0280
	v_mov_b32_e32 v17, 0                                       // 000000002CA0: 7E220280
	s_mov_b64 exec, s[36:37]                                   // 000000002CA4: BEFE0124
	buffer_load_dwordx4 v[26:29], v46, s[20:23], 0 offen       // 000000002CA8: E05C1000 80051A2E
	buffer_load_dwordx4 v[14:17], v31, s[12:15], 0 offen       // 000000002CB0: E05C1000 80030E1F
	s_mov_b64 exec, -1                                         // 000000002CB8: BEFE01C1
	v_add_u32_e32 v31, 0x80, v31                               // 000000002CBC: 683E3EFF 00000080
	v_add_u32_e32 v46, 0x80, v46                               // 000000002CC4: 685C5CFF 00000080
	v_mov_b32_e32 v40, 0                                       // 000000002CCC: 7E500280
	v_and_b32_e32 v36, 0xffff, v10                             // 000000002CD0: 264814FF 0000FFFF
	v_lshrrev_b32_e32 v37, 16, v10                             // 000000002CD8: 204A1490
	v_and_b32_e32 v38, 0xffff, v22                             // 000000002CDC: 264C2CFF 0000FFFF
	v_lshrrev_b32_e32 v39, 16, v22                             // 000000002CE4: 204E2C90
	v_lshlrev_b32_e32 v36, 16, v36                             // 000000002CE8: 24484890
	v_lshlrev_b32_e32 v38, 16, v38                             // 000000002CEC: 244C4C90
	v_lshlrev_b32_e32 v37, 16, v37                             // 000000002CF0: 244A4A90
	v_lshlrev_b32_e32 v39, 16, v39                             // 000000002CF4: 244E4E90
	v_fma_f32 v40, v36, v38, v40                               // 000000002CF8: D1CB0028 04A24D24
	v_fma_f32 v40, v37, v39, v40                               // 000000002D00: D1CB0028 04A24F25
	v_and_b32_e32 v36, 0xffff, v11                             // 000000002D08: 264816FF 0000FFFF
	v_lshrrev_b32_e32 v37, 16, v11                             // 000000002D10: 204A1690
	v_and_b32_e32 v38, 0xffff, v23                             // 000000002D14: 264C2EFF 0000FFFF
	v_lshrrev_b32_e32 v39, 16, v23                             // 000000002D1C: 204E2E90
	v_lshlrev_b32_e32 v36, 16, v36                             // 000000002D20: 24484890
	v_lshlrev_b32_e32 v38, 16, v38                             // 000000002D24: 244C4C90
	v_lshlrev_b32_e32 v37, 16, v37                             // 000000002D28: 244A4A90
	v_lshlrev_b32_e32 v39, 16, v39                             // 000000002D2C: 244E4E90
	v_fma_f32 v40, v36, v38, v40                               // 000000002D30: D1CB0028 04A24D24
	v_fma_f32 v40, v37, v39, v40                               // 000000002D38: D1CB0028 04A24F25
	v_and_b32_e32 v36, 0xffff, v12                             // 000000002D40: 264818FF 0000FFFF
	v_lshrrev_b32_e32 v37, 16, v12                             // 000000002D48: 204A1890
	v_and_b32_e32 v38, 0xffff, v24                             // 000000002D4C: 264C30FF 0000FFFF
	v_lshrrev_b32_e32 v39, 16, v24                             // 000000002D54: 204E3090
	v_lshlrev_b32_e32 v36, 16, v36                             // 000000002D58: 24484890
	v_lshlrev_b32_e32 v38, 16, v38                             // 000000002D5C: 244C4C90
	v_lshlrev_b32_e32 v37, 16, v37                             // 000000002D60: 244A4A90
	v_lshlrev_b32_e32 v39, 16, v39                             // 000000002D64: 244E4E90
	v_fma_f32 v40, v36, v38, v40                               // 000000002D68: D1CB0028 04A24D24
	v_fma_f32 v40, v37, v39, v40                               // 000000002D70: D1CB0028 04A24F25
	v_and_b32_e32 v36, 0xffff, v13                             // 000000002D78: 26481AFF 0000FFFF
	v_lshrrev_b32_e32 v37, 16, v13                             // 000000002D80: 204A1A90
	v_and_b32_e32 v38, 0xffff, v25                             // 000000002D84: 264C32FF 0000FFFF
	v_lshrrev_b32_e32 v39, 16, v25                             // 000000002D8C: 204E3290
	v_lshlrev_b32_e32 v36, 16, v36                             // 000000002D90: 24484890
	v_lshlrev_b32_e32 v38, 16, v38                             // 000000002D94: 244C4C90
	v_lshlrev_b32_e32 v37, 16, v37                             // 000000002D98: 244A4A90
	v_lshlrev_b32_e32 v39, 16, v39                             // 000000002D9C: 244E4E90
	v_fma_f32 v40, v36, v38, v40                               // 000000002DA0: D1CB0028 04A24D24
	v_fma_f32 v40, v37, v39, v40                               // 000000002DA8: D1CB0028 04A24F25
	ds_write_b32 v32, v40                                      // 000000002DB0: D81A0000 00002820
	s_waitcnt lgkmcnt(0)                                       // 000000002DB8: BF8CC07F
	s_mov_b64 exec, s[48:49]                                   // 000000002DBC: BEFE0130
	ds_read_b128 v[36:39], v34                                 // 000000002DC0: D9FE0000 24000022
	s_waitcnt lgkmcnt(0)                                       // 000000002DC8: BF8CC07F
	ds_read_b128 v[40:43], v35                                 // 000000002DCC: D9FE0000 28000023
	s_waitcnt lgkmcnt(0)                                       // 000000002DD4: BF8CC07F
	v_add_f32_e32 v30, v36, v30                                // 000000002DD8: 023C3D24
	v_add_f32_e32 v30, v37, v30                                // 000000002DDC: 023C3D25
	v_add_f32_e32 v30, v38, v30                                // 000000002DE0: 023C3D26
	v_add_f32_e32 v30, v39, v30                                // 000000002DE4: 023C3D27
	v_add_f32_e32 v30, v40, v30                                // 000000002DE8: 023C3D28
	v_add_f32_e32 v30, v41, v30                                // 000000002DEC: 023C3D29
	v_add_f32_e32 v30, v42, v30                                // 000000002DF0: 023C3D2A
	v_add_f32_e32 v30, v43, v30                                // 000000002DF4: 023C3D2B
	s_mov_b64 exec, -1                                         // 000000002DF8: BEFE01C1
	s_waitcnt vmcnt(0) expcnt(0) lgkmcnt(0)                    // 000000002DFC: BF8C0000
	s_barrier                                                  // 000000002E00: BF8A0000
	v_mov_b32_e32 v40, 0                                       // 000000002E04: 7E500280
	v_and_b32_e32 v36, 0xffff, v14                             // 000000002E08: 26481CFF 0000FFFF
	v_lshrrev_b32_e32 v37, 16, v14                             // 000000002E10: 204A1C90
	v_and_b32_e32 v38, 0xffff, v26                             // 000000002E14: 264C34FF 0000FFFF
	v_lshrrev_b32_e32 v39, 16, v26                             // 000000002E1C: 204E3490
	v_lshlrev_b32_e32 v36, 16, v36                             // 000000002E20: 24484890
	v_lshlrev_b32_e32 v38, 16, v38                             // 000000002E24: 244C4C90
	v_lshlrev_b32_e32 v37, 16, v37                             // 000000002E28: 244A4A90
	v_lshlrev_b32_e32 v39, 16, v39                             // 000000002E2C: 244E4E90
	v_fma_f32 v40, v36, v38, v40                               // 000000002E30: D1CB0028 04A24D24
	v_fma_f32 v40, v37, v39, v40                               // 000000002E38: D1CB0028 04A24F25
	v_and_b32_e32 v36, 0xffff, v15                             // 000000002E40: 26481EFF 0000FFFF
	v_lshrrev_b32_e32 v37, 16, v15                             // 000000002E48: 204A1E90
	v_and_b32_e32 v38, 0xffff, v27                             // 000000002E4C: 264C36FF 0000FFFF
	v_lshrrev_b32_e32 v39, 16, v27                             // 000000002E54: 204E3690
	v_lshlrev_b32_e32 v36, 16, v36                             // 000000002E58: 24484890
	v_lshlrev_b32_e32 v38, 16, v38                             // 000000002E5C: 244C4C90
	v_lshlrev_b32_e32 v37, 16, v37                             // 000000002E60: 244A4A90
	v_lshlrev_b32_e32 v39, 16, v39                             // 000000002E64: 244E4E90
	v_fma_f32 v40, v36, v38, v40                               // 000000002E68: D1CB0028 04A24D24
	v_fma_f32 v40, v37, v39, v40                               // 000000002E70: D1CB0028 04A24F25
	v_and_b32_e32 v36, 0xffff, v16                             // 000000002E78: 264820FF 0000FFFF
	v_lshrrev_b32_e32 v37, 16, v16                             // 000000002E80: 204A2090
	v_and_b32_e32 v38, 0xffff, v28                             // 000000002E84: 264C38FF 0000FFFF
	v_lshrrev_b32_e32 v39, 16, v28                             // 000000002E8C: 204E3890
	v_lshlrev_b32_e32 v36, 16, v36                             // 000000002E90: 24484890
	v_lshlrev_b32_e32 v38, 16, v38                             // 000000002E94: 244C4C90
	v_lshlrev_b32_e32 v37, 16, v37                             // 000000002E98: 244A4A90
	v_lshlrev_b32_e32 v39, 16, v39                             // 000000002E9C: 244E4E90
	v_fma_f32 v40, v36, v38, v40                               // 000000002EA0: D1CB0028 04A24D24
	v_fma_f32 v40, v37, v39, v40                               // 000000002EA8: D1CB0028 04A24F25
	v_and_b32_e32 v36, 0xffff, v17                             // 000000002EB0: 264822FF 0000FFFF
	v_lshrrev_b32_e32 v37, 16, v17                             // 000000002EB8: 204A2290
	v_and_b32_e32 v38, 0xffff, v29                             // 000000002EBC: 264C3AFF 0000FFFF
	v_lshrrev_b32_e32 v39, 16, v29                             // 000000002EC4: 204E3A90
	v_lshlrev_b32_e32 v36, 16, v36                             // 000000002EC8: 24484890
	v_lshlrev_b32_e32 v38, 16, v38                             // 000000002ECC: 244C4C90
	v_lshlrev_b32_e32 v37, 16, v37                             // 000000002ED0: 244A4A90
	v_lshlrev_b32_e32 v39, 16, v39                             // 000000002ED4: 244E4E90
	v_fma_f32 v40, v36, v38, v40                               // 000000002ED8: D1CB0028 04A24D24
	v_fma_f32 v40, v37, v39, v40                               // 000000002EE0: D1CB0028 04A24F25
	ds_write_b32 v32, v40                                      // 000000002EE8: D81A0000 00002820
	s_waitcnt lgkmcnt(0)                                       // 000000002EF0: BF8CC07F
	s_mov_b64 exec, s[48:49]                                   // 000000002EF4: BEFE0130
	ds_read_b128 v[36:39], v34                                 // 000000002EF8: D9FE0000 24000022
	s_waitcnt lgkmcnt(0)                                       // 000000002F00: BF8CC07F
	ds_read_b128 v[40:43], v35                                 // 000000002F04: D9FE0000 28000023
	s_waitcnt lgkmcnt(0)                                       // 000000002F0C: BF8CC07F
	v_add_f32_e32 v30, v36, v30                                // 000000002F10: 023C3D24
	v_add_f32_e32 v30, v37, v30                                // 000000002F14: 023C3D25
	v_add_f32_e32 v30, v38, v30                                // 000000002F18: 023C3D26
	v_add_f32_e32 v30, v39, v30                                // 000000002F1C: 023C3D27
	v_add_f32_e32 v30, v40, v30                                // 000000002F20: 023C3D28
	v_add_f32_e32 v30, v41, v30                                // 000000002F24: 023C3D29
	v_add_f32_e32 v30, v42, v30                                // 000000002F28: 023C3D2A
	v_add_f32_e32 v30, v43, v30                                // 000000002F2C: 023C3D2B
	s_mov_b64 exec, -1                                         // 000000002F30: BEFE01C1
	s_mul_i32 s31, s8, 2                                       // 000000002F34: 921F8208
	s_lshl_b32 s31, s31, 3                                     // 000000002F38: 8E1F831F
	v_add_u32_e32 v31, s31, v4                                 // 000000002F3C: 683E081F
	s_mul_i32 s31, s52, 2                                      // 000000002F40: 921F8234
	s_lshl_b32 s31, s31, 3                                     // 000000002F44: 8E1F831F
	v_add_u32_e32 v46, s31, v45                                // 000000002F48: 685C5A1F
	v_and_b32_e32 v44, 7, v0                                   // 000000002F4C: 26580087
	v_cmp_eq_u32_e64 s[48:49], v44, 4                          // 000000002F50: D0CA0030 0001092C
	buffer_load_dwordx4 v[18:21], v46, s[20:23], 0 offen       // 000000002F58: E05C1000 8005122E
	buffer_load_dwordx4 v[6:9], v31, s[12:15], 0 offen         // 000000002F60: E05C1000 8003061F
	v_add_u32_e32 v31, 0x80, v31                               // 000000002F68: 683E3EFF 00000080
	v_add_u32_e32 v46, 0x80, v46                               // 000000002F70: 685C5CFF 00000080
	s_waitcnt vmcnt(0) expcnt(0) lgkmcnt(0)                    // 000000002F78: BF8C0000
	s_barrier                                                  // 000000002F7C: BF8A0000
	buffer_load_dwordx4 v[22:25], v46, s[20:23], 0 offen       // 000000002F80: E05C1000 8005162E
	buffer_load_dwordx4 v[10:13], v31, s[12:15], 0 offen       // 000000002F88: E05C1000 80030A1F
	v_add_u32_e32 v31, 0x80, v31                               // 000000002F90: 683E3EFF 00000080
	v_add_u32_e32 v46, 0x80, v46                               // 000000002F98: 685C5CFF 00000080
	v_mov_b32_e32 v40, 0                                       // 000000002FA0: 7E500280
	v_and_b32_e32 v36, 0xffff, v6                              // 000000002FA4: 26480CFF 0000FFFF
	v_lshrrev_b32_e32 v37, 16, v6                              // 000000002FAC: 204A0C90
	v_and_b32_e32 v38, 0xffff, v18                             // 000000002FB0: 264C24FF 0000FFFF
	v_lshrrev_b32_e32 v39, 16, v18                             // 000000002FB8: 204E2490
	v_lshlrev_b32_e32 v36, 16, v36                             // 000000002FBC: 24484890
	v_lshlrev_b32_e32 v38, 16, v38                             // 000000002FC0: 244C4C90
	v_lshlrev_b32_e32 v37, 16, v37                             // 000000002FC4: 244A4A90
	v_lshlrev_b32_e32 v39, 16, v39                             // 000000002FC8: 244E4E90
	v_fma_f32 v40, v36, v38, v40                               // 000000002FCC: D1CB0028 04A24D24
	v_fma_f32 v40, v37, v39, v40                               // 000000002FD4: D1CB0028 04A24F25
	v_and_b32_e32 v36, 0xffff, v7                              // 000000002FDC: 26480EFF 0000FFFF
	v_lshrrev_b32_e32 v37, 16, v7                              // 000000002FE4: 204A0E90
	v_and_b32_e32 v38, 0xffff, v19                             // 000000002FE8: 264C26FF 0000FFFF
	v_lshrrev_b32_e32 v39, 16, v19                             // 000000002FF0: 204E2690
	v_lshlrev_b32_e32 v36, 16, v36                             // 000000002FF4: 24484890
	v_lshlrev_b32_e32 v38, 16, v38                             // 000000002FF8: 244C4C90
	v_lshlrev_b32_e32 v37, 16, v37                             // 000000002FFC: 244A4A90
	v_lshlrev_b32_e32 v39, 16, v39                             // 000000003000: 244E4E90
	v_fma_f32 v40, v36, v38, v40                               // 000000003004: D1CB0028 04A24D24
	v_fma_f32 v40, v37, v39, v40                               // 00000000300C: D1CB0028 04A24F25
	v_and_b32_e32 v36, 0xffff, v8                              // 000000003014: 264810FF 0000FFFF
	v_lshrrev_b32_e32 v37, 16, v8                              // 00000000301C: 204A1090
	v_and_b32_e32 v38, 0xffff, v20                             // 000000003020: 264C28FF 0000FFFF
	v_lshrrev_b32_e32 v39, 16, v20                             // 000000003028: 204E2890
	v_lshlrev_b32_e32 v36, 16, v36                             // 00000000302C: 24484890
	v_lshlrev_b32_e32 v38, 16, v38                             // 000000003030: 244C4C90
	v_lshlrev_b32_e32 v37, 16, v37                             // 000000003034: 244A4A90
	v_lshlrev_b32_e32 v39, 16, v39                             // 000000003038: 244E4E90
	v_fma_f32 v40, v36, v38, v40                               // 00000000303C: D1CB0028 04A24D24
	v_fma_f32 v40, v37, v39, v40                               // 000000003044: D1CB0028 04A24F25
	v_and_b32_e32 v36, 0xffff, v9                              // 00000000304C: 264812FF 0000FFFF
	v_lshrrev_b32_e32 v37, 16, v9                              // 000000003054: 204A1290
	v_and_b32_e32 v38, 0xffff, v21                             // 000000003058: 264C2AFF 0000FFFF
	v_lshrrev_b32_e32 v39, 16, v21                             // 000000003060: 204E2A90
	v_lshlrev_b32_e32 v36, 16, v36                             // 000000003064: 24484890
	v_lshlrev_b32_e32 v38, 16, v38                             // 000000003068: 244C4C90
	v_lshlrev_b32_e32 v37, 16, v37                             // 00000000306C: 244A4A90
	v_lshlrev_b32_e32 v39, 16, v39                             // 000000003070: 244E4E90
	v_fma_f32 v40, v36, v38, v40                               // 000000003074: D1CB0028 04A24D24
	v_fma_f32 v40, v37, v39, v40                               // 00000000307C: D1CB0028 04A24F25
	ds_write_b32 v32, v40                                      // 000000003084: D81A0000 00002820
	s_waitcnt lgkmcnt(0)                                       // 00000000308C: BF8CC07F
	s_mov_b64 exec, s[48:49]                                   // 000000003090: BEFE0130
	ds_read_b128 v[36:39], v34                                 // 000000003094: D9FE0000 24000022
	s_waitcnt lgkmcnt(0)                                       // 00000000309C: BF8CC07F
	ds_read_b128 v[40:43], v35                                 // 0000000030A0: D9FE0000 28000023
	s_waitcnt lgkmcnt(0)                                       // 0000000030A8: BF8CC07F
	v_add_f32_e32 v30, v36, v30                                // 0000000030AC: 023C3D24
	v_add_f32_e32 v30, v37, v30                                // 0000000030B0: 023C3D25
	v_add_f32_e32 v30, v38, v30                                // 0000000030B4: 023C3D26
	v_add_f32_e32 v30, v39, v30                                // 0000000030B8: 023C3D27
	v_add_f32_e32 v30, v40, v30                                // 0000000030BC: 023C3D28
	v_add_f32_e32 v30, v41, v30                                // 0000000030C0: 023C3D29
	v_add_f32_e32 v30, v42, v30                                // 0000000030C4: 023C3D2A
	v_add_f32_e32 v30, v43, v30                                // 0000000030C8: 023C3D2B
	s_mov_b64 exec, -1                                         // 0000000030CC: BEFE01C1
	s_waitcnt vmcnt(0) expcnt(0) lgkmcnt(0)                    // 0000000030D0: BF8C0000
	s_barrier                                                  // 0000000030D4: BF8A0000
	v_mov_b32_e32 v26, 0                                       // 0000000030D8: 7E340280
	v_mov_b32_e32 v14, 0                                       // 0000000030DC: 7E1C0280
	v_mov_b32_e32 v27, 0                                       // 0000000030E0: 7E360280
	v_mov_b32_e32 v15, 0                                       // 0000000030E4: 7E1E0280
	v_mov_b32_e32 v28, 0                                       // 0000000030E8: 7E380280
	v_mov_b32_e32 v16, 0                                       // 0000000030EC: 7E200280
	v_mov_b32_e32 v29, 0                                       // 0000000030F0: 7E3A0280
	v_mov_b32_e32 v17, 0                                       // 0000000030F4: 7E220280
	s_mov_b64 exec, s[36:37]                                   // 0000000030F8: BEFE0124
	buffer_load_dwordx4 v[26:29], v46, s[20:23], 0 offen       // 0000000030FC: E05C1000 80051A2E
	buffer_load_dwordx4 v[14:17], v31, s[12:15], 0 offen       // 000000003104: E05C1000 80030E1F
	s_mov_b64 exec, -1                                         // 00000000310C: BEFE01C1
	v_add_u32_e32 v31, 0x80, v31                               // 000000003110: 683E3EFF 00000080
	v_add_u32_e32 v46, 0x80, v46                               // 000000003118: 685C5CFF 00000080
	v_mov_b32_e32 v40, 0                                       // 000000003120: 7E500280
	v_and_b32_e32 v36, 0xffff, v10                             // 000000003124: 264814FF 0000FFFF
	v_lshrrev_b32_e32 v37, 16, v10                             // 00000000312C: 204A1490
	v_and_b32_e32 v38, 0xffff, v22                             // 000000003130: 264C2CFF 0000FFFF
	v_lshrrev_b32_e32 v39, 16, v22                             // 000000003138: 204E2C90
	v_lshlrev_b32_e32 v36, 16, v36                             // 00000000313C: 24484890
	v_lshlrev_b32_e32 v38, 16, v38                             // 000000003140: 244C4C90
	v_lshlrev_b32_e32 v37, 16, v37                             // 000000003144: 244A4A90
	v_lshlrev_b32_e32 v39, 16, v39                             // 000000003148: 244E4E90
	v_fma_f32 v40, v36, v38, v40                               // 00000000314C: D1CB0028 04A24D24
	v_fma_f32 v40, v37, v39, v40                               // 000000003154: D1CB0028 04A24F25
	v_and_b32_e32 v36, 0xffff, v11                             // 00000000315C: 264816FF 0000FFFF
	v_lshrrev_b32_e32 v37, 16, v11                             // 000000003164: 204A1690
	v_and_b32_e32 v38, 0xffff, v23                             // 000000003168: 264C2EFF 0000FFFF
	v_lshrrev_b32_e32 v39, 16, v23                             // 000000003170: 204E2E90
	v_lshlrev_b32_e32 v36, 16, v36                             // 000000003174: 24484890
	v_lshlrev_b32_e32 v38, 16, v38                             // 000000003178: 244C4C90
	v_lshlrev_b32_e32 v37, 16, v37                             // 00000000317C: 244A4A90
	v_lshlrev_b32_e32 v39, 16, v39                             // 000000003180: 244E4E90
	v_fma_f32 v40, v36, v38, v40                               // 000000003184: D1CB0028 04A24D24
	v_fma_f32 v40, v37, v39, v40                               // 00000000318C: D1CB0028 04A24F25
	v_and_b32_e32 v36, 0xffff, v12                             // 000000003194: 264818FF 0000FFFF
	v_lshrrev_b32_e32 v37, 16, v12                             // 00000000319C: 204A1890
	v_and_b32_e32 v38, 0xffff, v24                             // 0000000031A0: 264C30FF 0000FFFF
	v_lshrrev_b32_e32 v39, 16, v24                             // 0000000031A8: 204E3090
	v_lshlrev_b32_e32 v36, 16, v36                             // 0000000031AC: 24484890
	v_lshlrev_b32_e32 v38, 16, v38                             // 0000000031B0: 244C4C90
	v_lshlrev_b32_e32 v37, 16, v37                             // 0000000031B4: 244A4A90
	v_lshlrev_b32_e32 v39, 16, v39                             // 0000000031B8: 244E4E90
	v_fma_f32 v40, v36, v38, v40                               // 0000000031BC: D1CB0028 04A24D24
	v_fma_f32 v40, v37, v39, v40                               // 0000000031C4: D1CB0028 04A24F25
	v_and_b32_e32 v36, 0xffff, v13                             // 0000000031CC: 26481AFF 0000FFFF
	v_lshrrev_b32_e32 v37, 16, v13                             // 0000000031D4: 204A1A90
	v_and_b32_e32 v38, 0xffff, v25                             // 0000000031D8: 264C32FF 0000FFFF
	v_lshrrev_b32_e32 v39, 16, v25                             // 0000000031E0: 204E3290
	v_lshlrev_b32_e32 v36, 16, v36                             // 0000000031E4: 24484890
	v_lshlrev_b32_e32 v38, 16, v38                             // 0000000031E8: 244C4C90
	v_lshlrev_b32_e32 v37, 16, v37                             // 0000000031EC: 244A4A90
	v_lshlrev_b32_e32 v39, 16, v39                             // 0000000031F0: 244E4E90
	v_fma_f32 v40, v36, v38, v40                               // 0000000031F4: D1CB0028 04A24D24
	v_fma_f32 v40, v37, v39, v40                               // 0000000031FC: D1CB0028 04A24F25
	ds_write_b32 v32, v40                                      // 000000003204: D81A0000 00002820
	s_waitcnt lgkmcnt(0)                                       // 00000000320C: BF8CC07F
	s_mov_b64 exec, s[48:49]                                   // 000000003210: BEFE0130
	ds_read_b128 v[36:39], v34                                 // 000000003214: D9FE0000 24000022
	s_waitcnt lgkmcnt(0)                                       // 00000000321C: BF8CC07F
	ds_read_b128 v[40:43], v35                                 // 000000003220: D9FE0000 28000023
	s_waitcnt lgkmcnt(0)                                       // 000000003228: BF8CC07F
	v_add_f32_e32 v30, v36, v30                                // 00000000322C: 023C3D24
	v_add_f32_e32 v30, v37, v30                                // 000000003230: 023C3D25
	v_add_f32_e32 v30, v38, v30                                // 000000003234: 023C3D26
	v_add_f32_e32 v30, v39, v30                                // 000000003238: 023C3D27
	v_add_f32_e32 v30, v40, v30                                // 00000000323C: 023C3D28
	v_add_f32_e32 v30, v41, v30                                // 000000003240: 023C3D29
	v_add_f32_e32 v30, v42, v30                                // 000000003244: 023C3D2A
	v_add_f32_e32 v30, v43, v30                                // 000000003248: 023C3D2B
	s_mov_b64 exec, -1                                         // 00000000324C: BEFE01C1
	s_waitcnt vmcnt(0) expcnt(0) lgkmcnt(0)                    // 000000003250: BF8C0000
	s_barrier                                                  // 000000003254: BF8A0000
	v_mov_b32_e32 v40, 0                                       // 000000003258: 7E500280
	v_and_b32_e32 v36, 0xffff, v14                             // 00000000325C: 26481CFF 0000FFFF
	v_lshrrev_b32_e32 v37, 16, v14                             // 000000003264: 204A1C90
	v_and_b32_e32 v38, 0xffff, v26                             // 000000003268: 264C34FF 0000FFFF
	v_lshrrev_b32_e32 v39, 16, v26                             // 000000003270: 204E3490
	v_lshlrev_b32_e32 v36, 16, v36                             // 000000003274: 24484890
	v_lshlrev_b32_e32 v38, 16, v38                             // 000000003278: 244C4C90
	v_lshlrev_b32_e32 v37, 16, v37                             // 00000000327C: 244A4A90
	v_lshlrev_b32_e32 v39, 16, v39                             // 000000003280: 244E4E90
	v_fma_f32 v40, v36, v38, v40                               // 000000003284: D1CB0028 04A24D24
	v_fma_f32 v40, v37, v39, v40                               // 00000000328C: D1CB0028 04A24F25
	v_and_b32_e32 v36, 0xffff, v15                             // 000000003294: 26481EFF 0000FFFF
	v_lshrrev_b32_e32 v37, 16, v15                             // 00000000329C: 204A1E90
	v_and_b32_e32 v38, 0xffff, v27                             // 0000000032A0: 264C36FF 0000FFFF
	v_lshrrev_b32_e32 v39, 16, v27                             // 0000000032A8: 204E3690
	v_lshlrev_b32_e32 v36, 16, v36                             // 0000000032AC: 24484890
	v_lshlrev_b32_e32 v38, 16, v38                             // 0000000032B0: 244C4C90
	v_lshlrev_b32_e32 v37, 16, v37                             // 0000000032B4: 244A4A90
	v_lshlrev_b32_e32 v39, 16, v39                             // 0000000032B8: 244E4E90
	v_fma_f32 v40, v36, v38, v40                               // 0000000032BC: D1CB0028 04A24D24
	v_fma_f32 v40, v37, v39, v40                               // 0000000032C4: D1CB0028 04A24F25
	v_and_b32_e32 v36, 0xffff, v16                             // 0000000032CC: 264820FF 0000FFFF
	v_lshrrev_b32_e32 v37, 16, v16                             // 0000000032D4: 204A2090
	v_and_b32_e32 v38, 0xffff, v28                             // 0000000032D8: 264C38FF 0000FFFF
	v_lshrrev_b32_e32 v39, 16, v28                             // 0000000032E0: 204E3890
	v_lshlrev_b32_e32 v36, 16, v36                             // 0000000032E4: 24484890
	v_lshlrev_b32_e32 v38, 16, v38                             // 0000000032E8: 244C4C90
	v_lshlrev_b32_e32 v37, 16, v37                             // 0000000032EC: 244A4A90
	v_lshlrev_b32_e32 v39, 16, v39                             // 0000000032F0: 244E4E90
	v_fma_f32 v40, v36, v38, v40                               // 0000000032F4: D1CB0028 04A24D24
	v_fma_f32 v40, v37, v39, v40                               // 0000000032FC: D1CB0028 04A24F25
	v_and_b32_e32 v36, 0xffff, v17                             // 000000003304: 264822FF 0000FFFF
	v_lshrrev_b32_e32 v37, 16, v17                             // 00000000330C: 204A2290
	v_and_b32_e32 v38, 0xffff, v29                             // 000000003310: 264C3AFF 0000FFFF
	v_lshrrev_b32_e32 v39, 16, v29                             // 000000003318: 204E3A90
	v_lshlrev_b32_e32 v36, 16, v36                             // 00000000331C: 24484890
	v_lshlrev_b32_e32 v38, 16, v38                             // 000000003320: 244C4C90
	v_lshlrev_b32_e32 v37, 16, v37                             // 000000003324: 244A4A90
	v_lshlrev_b32_e32 v39, 16, v39                             // 000000003328: 244E4E90
	v_fma_f32 v40, v36, v38, v40                               // 00000000332C: D1CB0028 04A24D24
	v_fma_f32 v40, v37, v39, v40                               // 000000003334: D1CB0028 04A24F25
	ds_write_b32 v32, v40                                      // 00000000333C: D81A0000 00002820
	s_waitcnt lgkmcnt(0)                                       // 000000003344: BF8CC07F
	s_mov_b64 exec, s[48:49]                                   // 000000003348: BEFE0130
	ds_read_b128 v[36:39], v34                                 // 00000000334C: D9FE0000 24000022
	s_waitcnt lgkmcnt(0)                                       // 000000003354: BF8CC07F
	ds_read_b128 v[40:43], v35                                 // 000000003358: D9FE0000 28000023
	s_waitcnt lgkmcnt(0)                                       // 000000003360: BF8CC07F
	v_add_f32_e32 v30, v36, v30                                // 000000003364: 023C3D24
	v_add_f32_e32 v30, v37, v30                                // 000000003368: 023C3D25
	v_add_f32_e32 v30, v38, v30                                // 00000000336C: 023C3D26
	v_add_f32_e32 v30, v39, v30                                // 000000003370: 023C3D27
	v_add_f32_e32 v30, v40, v30                                // 000000003374: 023C3D28
	v_add_f32_e32 v30, v41, v30                                // 000000003378: 023C3D29
	v_add_f32_e32 v30, v42, v30                                // 00000000337C: 023C3D2A
	v_add_f32_e32 v30, v43, v30                                // 000000003380: 023C3D2B
	s_mov_b64 exec, -1                                         // 000000003384: BEFE01C1
	s_mul_i32 s31, s8, 3                                       // 000000003388: 921F8308
	s_lshl_b32 s31, s31, 3                                     // 00000000338C: 8E1F831F
	v_add_u32_e32 v31, s31, v4                                 // 000000003390: 683E081F
	s_mul_i32 s31, s52, 3                                      // 000000003394: 921F8334
	s_lshl_b32 s31, s31, 3                                     // 000000003398: 8E1F831F
	v_add_u32_e32 v46, s31, v45                                // 00000000339C: 685C5A1F
	v_and_b32_e32 v44, 7, v0                                   // 0000000033A0: 26580087
	v_cmp_eq_u32_e64 s[48:49], v44, 6                          // 0000000033A4: D0CA0030 00010D2C
	buffer_load_dwordx4 v[18:21], v46, s[20:23], 0 offen       // 0000000033AC: E05C1000 8005122E
	buffer_load_dwordx4 v[6:9], v31, s[12:15], 0 offen         // 0000000033B4: E05C1000 8003061F
	v_add_u32_e32 v31, 0x80, v31                               // 0000000033BC: 683E3EFF 00000080
	v_add_u32_e32 v46, 0x80, v46                               // 0000000033C4: 685C5CFF 00000080
	s_waitcnt vmcnt(0) expcnt(0) lgkmcnt(0)                    // 0000000033CC: BF8C0000
	s_barrier                                                  // 0000000033D0: BF8A0000
	buffer_load_dwordx4 v[22:25], v46, s[20:23], 0 offen       // 0000000033D4: E05C1000 8005162E
	buffer_load_dwordx4 v[10:13], v31, s[12:15], 0 offen       // 0000000033DC: E05C1000 80030A1F
	v_add_u32_e32 v31, 0x80, v31                               // 0000000033E4: 683E3EFF 00000080
	v_add_u32_e32 v46, 0x80, v46                               // 0000000033EC: 685C5CFF 00000080
	v_mov_b32_e32 v40, 0                                       // 0000000033F4: 7E500280
	v_and_b32_e32 v36, 0xffff, v6                              // 0000000033F8: 26480CFF 0000FFFF
	v_lshrrev_b32_e32 v37, 16, v6                              // 000000003400: 204A0C90
	v_and_b32_e32 v38, 0xffff, v18                             // 000000003404: 264C24FF 0000FFFF
	v_lshrrev_b32_e32 v39, 16, v18                             // 00000000340C: 204E2490
	v_lshlrev_b32_e32 v36, 16, v36                             // 000000003410: 24484890
	v_lshlrev_b32_e32 v38, 16, v38                             // 000000003414: 244C4C90
	v_lshlrev_b32_e32 v37, 16, v37                             // 000000003418: 244A4A90
	v_lshlrev_b32_e32 v39, 16, v39                             // 00000000341C: 244E4E90
	v_fma_f32 v40, v36, v38, v40                               // 000000003420: D1CB0028 04A24D24
	v_fma_f32 v40, v37, v39, v40                               // 000000003428: D1CB0028 04A24F25
	v_and_b32_e32 v36, 0xffff, v7                              // 000000003430: 26480EFF 0000FFFF
	v_lshrrev_b32_e32 v37, 16, v7                              // 000000003438: 204A0E90
	v_and_b32_e32 v38, 0xffff, v19                             // 00000000343C: 264C26FF 0000FFFF
	v_lshrrev_b32_e32 v39, 16, v19                             // 000000003444: 204E2690
	v_lshlrev_b32_e32 v36, 16, v36                             // 000000003448: 24484890
	v_lshlrev_b32_e32 v38, 16, v38                             // 00000000344C: 244C4C90
	v_lshlrev_b32_e32 v37, 16, v37                             // 000000003450: 244A4A90
	v_lshlrev_b32_e32 v39, 16, v39                             // 000000003454: 244E4E90
	v_fma_f32 v40, v36, v38, v40                               // 000000003458: D1CB0028 04A24D24
	v_fma_f32 v40, v37, v39, v40                               // 000000003460: D1CB0028 04A24F25
	v_and_b32_e32 v36, 0xffff, v8                              // 000000003468: 264810FF 0000FFFF
	v_lshrrev_b32_e32 v37, 16, v8                              // 000000003470: 204A1090
	v_and_b32_e32 v38, 0xffff, v20                             // 000000003474: 264C28FF 0000FFFF
	v_lshrrev_b32_e32 v39, 16, v20                             // 00000000347C: 204E2890
	v_lshlrev_b32_e32 v36, 16, v36                             // 000000003480: 24484890
	v_lshlrev_b32_e32 v38, 16, v38                             // 000000003484: 244C4C90
	v_lshlrev_b32_e32 v37, 16, v37                             // 000000003488: 244A4A90
	v_lshlrev_b32_e32 v39, 16, v39                             // 00000000348C: 244E4E90
	v_fma_f32 v40, v36, v38, v40                               // 000000003490: D1CB0028 04A24D24
	v_fma_f32 v40, v37, v39, v40                               // 000000003498: D1CB0028 04A24F25
	v_and_b32_e32 v36, 0xffff, v9                              // 0000000034A0: 264812FF 0000FFFF
	v_lshrrev_b32_e32 v37, 16, v9                              // 0000000034A8: 204A1290
	v_and_b32_e32 v38, 0xffff, v21                             // 0000000034AC: 264C2AFF 0000FFFF
	v_lshrrev_b32_e32 v39, 16, v21                             // 0000000034B4: 204E2A90
	v_lshlrev_b32_e32 v36, 16, v36                             // 0000000034B8: 24484890
	v_lshlrev_b32_e32 v38, 16, v38                             // 0000000034BC: 244C4C90
	v_lshlrev_b32_e32 v37, 16, v37                             // 0000000034C0: 244A4A90
	v_lshlrev_b32_e32 v39, 16, v39                             // 0000000034C4: 244E4E90
	v_fma_f32 v40, v36, v38, v40                               // 0000000034C8: D1CB0028 04A24D24
	v_fma_f32 v40, v37, v39, v40                               // 0000000034D0: D1CB0028 04A24F25
	ds_write_b32 v32, v40                                      // 0000000034D8: D81A0000 00002820
	s_waitcnt lgkmcnt(0)                                       // 0000000034E0: BF8CC07F
	s_mov_b64 exec, s[48:49]                                   // 0000000034E4: BEFE0130
	ds_read_b128 v[36:39], v34                                 // 0000000034E8: D9FE0000 24000022
	s_waitcnt lgkmcnt(0)                                       // 0000000034F0: BF8CC07F
	ds_read_b128 v[40:43], v35                                 // 0000000034F4: D9FE0000 28000023
	s_waitcnt lgkmcnt(0)                                       // 0000000034FC: BF8CC07F
	v_add_f32_e32 v30, v36, v30                                // 000000003500: 023C3D24
	v_add_f32_e32 v30, v37, v30                                // 000000003504: 023C3D25
	v_add_f32_e32 v30, v38, v30                                // 000000003508: 023C3D26
	v_add_f32_e32 v30, v39, v30                                // 00000000350C: 023C3D27
	v_add_f32_e32 v30, v40, v30                                // 000000003510: 023C3D28
	v_add_f32_e32 v30, v41, v30                                // 000000003514: 023C3D29
	v_add_f32_e32 v30, v42, v30                                // 000000003518: 023C3D2A
	v_add_f32_e32 v30, v43, v30                                // 00000000351C: 023C3D2B
	s_mov_b64 exec, -1                                         // 000000003520: BEFE01C1
	s_waitcnt vmcnt(0) expcnt(0) lgkmcnt(0)                    // 000000003524: BF8C0000
	s_barrier                                                  // 000000003528: BF8A0000
	v_mov_b32_e32 v26, 0                                       // 00000000352C: 7E340280
	v_mov_b32_e32 v14, 0                                       // 000000003530: 7E1C0280
	v_mov_b32_e32 v27, 0                                       // 000000003534: 7E360280
	v_mov_b32_e32 v15, 0                                       // 000000003538: 7E1E0280
	v_mov_b32_e32 v28, 0                                       // 00000000353C: 7E380280
	v_mov_b32_e32 v16, 0                                       // 000000003540: 7E200280
	v_mov_b32_e32 v29, 0                                       // 000000003544: 7E3A0280
	v_mov_b32_e32 v17, 0                                       // 000000003548: 7E220280
	s_mov_b64 exec, s[36:37]                                   // 00000000354C: BEFE0124
	buffer_load_dwordx4 v[26:29], v46, s[20:23], 0 offen       // 000000003550: E05C1000 80051A2E
	buffer_load_dwordx4 v[14:17], v31, s[12:15], 0 offen       // 000000003558: E05C1000 80030E1F
	s_mov_b64 exec, -1                                         // 000000003560: BEFE01C1
	v_add_u32_e32 v31, 0x80, v31                               // 000000003564: 683E3EFF 00000080
	v_add_u32_e32 v46, 0x80, v46                               // 00000000356C: 685C5CFF 00000080
	v_mov_b32_e32 v40, 0                                       // 000000003574: 7E500280
	v_and_b32_e32 v36, 0xffff, v10                             // 000000003578: 264814FF 0000FFFF
	v_lshrrev_b32_e32 v37, 16, v10                             // 000000003580: 204A1490
	v_and_b32_e32 v38, 0xffff, v22                             // 000000003584: 264C2CFF 0000FFFF
	v_lshrrev_b32_e32 v39, 16, v22                             // 00000000358C: 204E2C90
	v_lshlrev_b32_e32 v36, 16, v36                             // 000000003590: 24484890
	v_lshlrev_b32_e32 v38, 16, v38                             // 000000003594: 244C4C90
	v_lshlrev_b32_e32 v37, 16, v37                             // 000000003598: 244A4A90
	v_lshlrev_b32_e32 v39, 16, v39                             // 00000000359C: 244E4E90
	v_fma_f32 v40, v36, v38, v40                               // 0000000035A0: D1CB0028 04A24D24
	v_fma_f32 v40, v37, v39, v40                               // 0000000035A8: D1CB0028 04A24F25
	v_and_b32_e32 v36, 0xffff, v11                             // 0000000035B0: 264816FF 0000FFFF
	v_lshrrev_b32_e32 v37, 16, v11                             // 0000000035B8: 204A1690
	v_and_b32_e32 v38, 0xffff, v23                             // 0000000035BC: 264C2EFF 0000FFFF
	v_lshrrev_b32_e32 v39, 16, v23                             // 0000000035C4: 204E2E90
	v_lshlrev_b32_e32 v36, 16, v36                             // 0000000035C8: 24484890
	v_lshlrev_b32_e32 v38, 16, v38                             // 0000000035CC: 244C4C90
	v_lshlrev_b32_e32 v37, 16, v37                             // 0000000035D0: 244A4A90
	v_lshlrev_b32_e32 v39, 16, v39                             // 0000000035D4: 244E4E90
	v_fma_f32 v40, v36, v38, v40                               // 0000000035D8: D1CB0028 04A24D24
	v_fma_f32 v40, v37, v39, v40                               // 0000000035E0: D1CB0028 04A24F25
	v_and_b32_e32 v36, 0xffff, v12                             // 0000000035E8: 264818FF 0000FFFF
	v_lshrrev_b32_e32 v37, 16, v12                             // 0000000035F0: 204A1890
	v_and_b32_e32 v38, 0xffff, v24                             // 0000000035F4: 264C30FF 0000FFFF
	v_lshrrev_b32_e32 v39, 16, v24                             // 0000000035FC: 204E3090
	v_lshlrev_b32_e32 v36, 16, v36                             // 000000003600: 24484890
	v_lshlrev_b32_e32 v38, 16, v38                             // 000000003604: 244C4C90
	v_lshlrev_b32_e32 v37, 16, v37                             // 000000003608: 244A4A90
	v_lshlrev_b32_e32 v39, 16, v39                             // 00000000360C: 244E4E90
	v_fma_f32 v40, v36, v38, v40                               // 000000003610: D1CB0028 04A24D24
	v_fma_f32 v40, v37, v39, v40                               // 000000003618: D1CB0028 04A24F25
	v_and_b32_e32 v36, 0xffff, v13                             // 000000003620: 26481AFF 0000FFFF
	v_lshrrev_b32_e32 v37, 16, v13                             // 000000003628: 204A1A90
	v_and_b32_e32 v38, 0xffff, v25                             // 00000000362C: 264C32FF 0000FFFF
	v_lshrrev_b32_e32 v39, 16, v25                             // 000000003634: 204E3290
	v_lshlrev_b32_e32 v36, 16, v36                             // 000000003638: 24484890
	v_lshlrev_b32_e32 v38, 16, v38                             // 00000000363C: 244C4C90
	v_lshlrev_b32_e32 v37, 16, v37                             // 000000003640: 244A4A90
	v_lshlrev_b32_e32 v39, 16, v39                             // 000000003644: 244E4E90
	v_fma_f32 v40, v36, v38, v40                               // 000000003648: D1CB0028 04A24D24
	v_fma_f32 v40, v37, v39, v40                               // 000000003650: D1CB0028 04A24F25
	ds_write_b32 v32, v40                                      // 000000003658: D81A0000 00002820
	s_waitcnt lgkmcnt(0)                                       // 000000003660: BF8CC07F
	s_mov_b64 exec, s[48:49]                                   // 000000003664: BEFE0130
	ds_read_b128 v[36:39], v34                                 // 000000003668: D9FE0000 24000022
	s_waitcnt lgkmcnt(0)                                       // 000000003670: BF8CC07F
	ds_read_b128 v[40:43], v35                                 // 000000003674: D9FE0000 28000023
	s_waitcnt lgkmcnt(0)                                       // 00000000367C: BF8CC07F
	v_add_f32_e32 v30, v36, v30                                // 000000003680: 023C3D24
	v_add_f32_e32 v30, v37, v30                                // 000000003684: 023C3D25
	v_add_f32_e32 v30, v38, v30                                // 000000003688: 023C3D26
	v_add_f32_e32 v30, v39, v30                                // 00000000368C: 023C3D27
	v_add_f32_e32 v30, v40, v30                                // 000000003690: 023C3D28
	v_add_f32_e32 v30, v41, v30                                // 000000003694: 023C3D29
	v_add_f32_e32 v30, v42, v30                                // 000000003698: 023C3D2A
	v_add_f32_e32 v30, v43, v30                                // 00000000369C: 023C3D2B
	s_mov_b64 exec, -1                                         // 0000000036A0: BEFE01C1
	s_waitcnt vmcnt(0) expcnt(0) lgkmcnt(0)                    // 0000000036A4: BF8C0000
	s_barrier                                                  // 0000000036A8: BF8A0000
	v_mov_b32_e32 v40, 0                                       // 0000000036AC: 7E500280
	v_and_b32_e32 v36, 0xffff, v14                             // 0000000036B0: 26481CFF 0000FFFF
	v_lshrrev_b32_e32 v37, 16, v14                             // 0000000036B8: 204A1C90
	v_and_b32_e32 v38, 0xffff, v26                             // 0000000036BC: 264C34FF 0000FFFF
	v_lshrrev_b32_e32 v39, 16, v26                             // 0000000036C4: 204E3490
	v_lshlrev_b32_e32 v36, 16, v36                             // 0000000036C8: 24484890
	v_lshlrev_b32_e32 v38, 16, v38                             // 0000000036CC: 244C4C90
	v_lshlrev_b32_e32 v37, 16, v37                             // 0000000036D0: 244A4A90
	v_lshlrev_b32_e32 v39, 16, v39                             // 0000000036D4: 244E4E90
	v_fma_f32 v40, v36, v38, v40                               // 0000000036D8: D1CB0028 04A24D24
	v_fma_f32 v40, v37, v39, v40                               // 0000000036E0: D1CB0028 04A24F25
	v_and_b32_e32 v36, 0xffff, v15                             // 0000000036E8: 26481EFF 0000FFFF
	v_lshrrev_b32_e32 v37, 16, v15                             // 0000000036F0: 204A1E90
	v_and_b32_e32 v38, 0xffff, v27                             // 0000000036F4: 264C36FF 0000FFFF
	v_lshrrev_b32_e32 v39, 16, v27                             // 0000000036FC: 204E3690
	v_lshlrev_b32_e32 v36, 16, v36                             // 000000003700: 24484890
	v_lshlrev_b32_e32 v38, 16, v38                             // 000000003704: 244C4C90
	v_lshlrev_b32_e32 v37, 16, v37                             // 000000003708: 244A4A90
	v_lshlrev_b32_e32 v39, 16, v39                             // 00000000370C: 244E4E90
	v_fma_f32 v40, v36, v38, v40                               // 000000003710: D1CB0028 04A24D24
	v_fma_f32 v40, v37, v39, v40                               // 000000003718: D1CB0028 04A24F25
	v_and_b32_e32 v36, 0xffff, v16                             // 000000003720: 264820FF 0000FFFF
	v_lshrrev_b32_e32 v37, 16, v16                             // 000000003728: 204A2090
	v_and_b32_e32 v38, 0xffff, v28                             // 00000000372C: 264C38FF 0000FFFF
	v_lshrrev_b32_e32 v39, 16, v28                             // 000000003734: 204E3890
	v_lshlrev_b32_e32 v36, 16, v36                             // 000000003738: 24484890
	v_lshlrev_b32_e32 v38, 16, v38                             // 00000000373C: 244C4C90
	v_lshlrev_b32_e32 v37, 16, v37                             // 000000003740: 244A4A90
	v_lshlrev_b32_e32 v39, 16, v39                             // 000000003744: 244E4E90
	v_fma_f32 v40, v36, v38, v40                               // 000000003748: D1CB0028 04A24D24
	v_fma_f32 v40, v37, v39, v40                               // 000000003750: D1CB0028 04A24F25
	v_and_b32_e32 v36, 0xffff, v17                             // 000000003758: 264822FF 0000FFFF
	v_lshrrev_b32_e32 v37, 16, v17                             // 000000003760: 204A2290
	v_and_b32_e32 v38, 0xffff, v29                             // 000000003764: 264C3AFF 0000FFFF
	v_lshrrev_b32_e32 v39, 16, v29                             // 00000000376C: 204E3A90
	v_lshlrev_b32_e32 v36, 16, v36                             // 000000003770: 24484890
	v_lshlrev_b32_e32 v38, 16, v38                             // 000000003774: 244C4C90
	v_lshlrev_b32_e32 v37, 16, v37                             // 000000003778: 244A4A90
	v_lshlrev_b32_e32 v39, 16, v39                             // 00000000377C: 244E4E90
	v_fma_f32 v40, v36, v38, v40                               // 000000003780: D1CB0028 04A24D24
	v_fma_f32 v40, v37, v39, v40                               // 000000003788: D1CB0028 04A24F25
	ds_write_b32 v32, v40                                      // 000000003790: D81A0000 00002820
	s_waitcnt lgkmcnt(0)                                       // 000000003798: BF8CC07F
	s_mov_b64 exec, s[48:49]                                   // 00000000379C: BEFE0130
	ds_read_b128 v[36:39], v34                                 // 0000000037A0: D9FE0000 24000022
	s_waitcnt lgkmcnt(0)                                       // 0000000037A8: BF8CC07F
	ds_read_b128 v[40:43], v35                                 // 0000000037AC: D9FE0000 28000023
	s_waitcnt lgkmcnt(0)                                       // 0000000037B4: BF8CC07F
	v_add_f32_e32 v30, v36, v30                                // 0000000037B8: 023C3D24
	v_add_f32_e32 v30, v37, v30                                // 0000000037BC: 023C3D25
	v_add_f32_e32 v30, v38, v30                                // 0000000037C0: 023C3D26
	v_add_f32_e32 v30, v39, v30                                // 0000000037C4: 023C3D27
	v_add_f32_e32 v30, v40, v30                                // 0000000037C8: 023C3D28
	v_add_f32_e32 v30, v41, v30                                // 0000000037CC: 023C3D29
	v_add_f32_e32 v30, v42, v30                                // 0000000037D0: 023C3D2A
	v_add_f32_e32 v30, v43, v30                                // 0000000037D4: 023C3D2B
	s_mov_b64 exec, -1                                         // 0000000037D8: BEFE01C1
	s_mov_b64 exec, s[38:39]                                   // 0000000037DC: BEFE0126
	buffer_store_dword v30, v5, s[16:19], 0 offen              // 0000000037E0: E0701000 80041E05

00000000000037e8 <label_04FA>:
	s_waitcnt vmcnt(0) expcnt(0) lgkmcnt(0)                    // 0000000037E8: BF8C0000
	s_endpgm                                                   // 0000000037EC: BF810000
